;; amdgpu-corpus repo=ROCm/rocFFT kind=compiled arch=gfx950 opt=O3
	.text
	.amdgcn_target "amdgcn-amd-amdhsa--gfx950"
	.amdhsa_code_object_version 6
	.protected	fft_rtc_fwd_len672_factors_2_2_2_2_2_3_7_wgs_56_tpt_56_halfLds_sp_op_CI_CI_unitstride_sbrr_R2C_dirReg ; -- Begin function fft_rtc_fwd_len672_factors_2_2_2_2_2_3_7_wgs_56_tpt_56_halfLds_sp_op_CI_CI_unitstride_sbrr_R2C_dirReg
	.globl	fft_rtc_fwd_len672_factors_2_2_2_2_2_3_7_wgs_56_tpt_56_halfLds_sp_op_CI_CI_unitstride_sbrr_R2C_dirReg
	.p2align	8
	.type	fft_rtc_fwd_len672_factors_2_2_2_2_2_3_7_wgs_56_tpt_56_halfLds_sp_op_CI_CI_unitstride_sbrr_R2C_dirReg,@function
fft_rtc_fwd_len672_factors_2_2_2_2_2_3_7_wgs_56_tpt_56_halfLds_sp_op_CI_CI_unitstride_sbrr_R2C_dirReg: ; @fft_rtc_fwd_len672_factors_2_2_2_2_2_3_7_wgs_56_tpt_56_halfLds_sp_op_CI_CI_unitstride_sbrr_R2C_dirReg
; %bb.0:
	s_load_dwordx4 s[4:7], s[0:1], 0x58
	s_load_dwordx4 s[8:11], s[0:1], 0x0
	;; [unrolled: 1-line block ×3, first 2 shown]
	v_mul_u32_u24_e32 v1, 0x493, v0
	v_add_u32_sdwa v6, s2, v1 dst_sel:DWORD dst_unused:UNUSED_PAD src0_sel:DWORD src1_sel:WORD_1
	v_mov_b32_e32 v4, 0
	s_waitcnt lgkmcnt(0)
	v_cmp_lt_u64_e64 s[2:3], s[10:11], 2
	v_mov_b32_e32 v7, v4
	s_and_b64 vcc, exec, s[2:3]
	v_mov_b64_e32 v[2:3], 0
	s_cbranch_vccnz .LBB0_8
; %bb.1:
	s_load_dwordx2 s[2:3], s[0:1], 0x10
	s_add_u32 s16, s14, 8
	s_addc_u32 s17, s15, 0
	s_add_u32 s18, s12, 8
	s_addc_u32 s19, s13, 0
	s_waitcnt lgkmcnt(0)
	s_add_u32 s20, s2, 8
	v_mov_b64_e32 v[2:3], 0
	s_addc_u32 s21, s3, 0
	s_mov_b64 s[22:23], 1
	v_mov_b64_e32 v[20:21], v[2:3]
.LBB0_2:                                ; =>This Inner Loop Header: Depth=1
	s_load_dwordx2 s[24:25], s[20:21], 0x0
                                        ; implicit-def: $vgpr22_vgpr23
	s_waitcnt lgkmcnt(0)
	v_or_b32_e32 v5, s25, v7
	v_cmp_ne_u64_e32 vcc, 0, v[4:5]
	s_and_saveexec_b64 s[2:3], vcc
	s_xor_b64 s[26:27], exec, s[2:3]
	s_cbranch_execz .LBB0_4
; %bb.3:                                ;   in Loop: Header=BB0_2 Depth=1
	v_cvt_f32_u32_e32 v1, s24
	v_cvt_f32_u32_e32 v5, s25
	s_sub_u32 s2, 0, s24
	s_subb_u32 s3, 0, s25
	v_fmac_f32_e32 v1, 0x4f800000, v5
	v_rcp_f32_e32 v1, v1
	s_nop 0
	v_mul_f32_e32 v1, 0x5f7ffffc, v1
	v_mul_f32_e32 v5, 0x2f800000, v1
	v_trunc_f32_e32 v5, v5
	v_fmac_f32_e32 v1, 0xcf800000, v5
	v_cvt_u32_f32_e32 v5, v5
	v_cvt_u32_f32_e32 v1, v1
	v_mul_lo_u32 v8, s2, v5
	v_mul_hi_u32 v10, s2, v1
	v_mul_lo_u32 v9, s3, v1
	v_add_u32_e32 v10, v10, v8
	v_mul_lo_u32 v12, s2, v1
	v_add_u32_e32 v13, v10, v9
	v_mul_hi_u32 v8, v1, v12
	v_mul_hi_u32 v11, v1, v13
	v_mul_lo_u32 v10, v1, v13
	v_mov_b32_e32 v9, v4
	v_lshl_add_u64 v[8:9], v[8:9], 0, v[10:11]
	v_mul_hi_u32 v11, v5, v12
	v_mul_lo_u32 v12, v5, v12
	v_add_co_u32_e32 v8, vcc, v8, v12
	v_mul_hi_u32 v10, v5, v13
	s_nop 0
	v_addc_co_u32_e32 v8, vcc, v9, v11, vcc
	v_mov_b32_e32 v9, v4
	s_nop 0
	v_addc_co_u32_e32 v11, vcc, 0, v10, vcc
	v_mul_lo_u32 v10, v5, v13
	v_lshl_add_u64 v[8:9], v[8:9], 0, v[10:11]
	v_add_co_u32_e32 v1, vcc, v1, v8
	v_mul_lo_u32 v10, s2, v1
	s_nop 0
	v_addc_co_u32_e32 v5, vcc, v5, v9, vcc
	v_mul_lo_u32 v8, s2, v5
	v_mul_hi_u32 v9, s2, v1
	v_add_u32_e32 v8, v9, v8
	v_mul_lo_u32 v9, s3, v1
	v_add_u32_e32 v12, v8, v9
	v_mul_hi_u32 v14, v5, v10
	v_mul_lo_u32 v15, v5, v10
	v_mul_hi_u32 v9, v1, v12
	v_mul_lo_u32 v8, v1, v12
	v_mul_hi_u32 v10, v1, v10
	v_mov_b32_e32 v11, v4
	v_lshl_add_u64 v[8:9], v[10:11], 0, v[8:9]
	v_add_co_u32_e32 v8, vcc, v8, v15
	v_mul_hi_u32 v13, v5, v12
	s_nop 0
	v_addc_co_u32_e32 v8, vcc, v9, v14, vcc
	v_mul_lo_u32 v10, v5, v12
	s_nop 0
	v_addc_co_u32_e32 v11, vcc, 0, v13, vcc
	v_mov_b32_e32 v9, v4
	v_lshl_add_u64 v[8:9], v[8:9], 0, v[10:11]
	v_add_co_u32_e32 v1, vcc, v1, v8
	v_mul_hi_u32 v10, v6, v1
	s_nop 0
	v_addc_co_u32_e32 v5, vcc, v5, v9, vcc
	v_mad_u64_u32 v[8:9], s[2:3], v6, v5, 0
	v_mov_b32_e32 v11, v4
	v_lshl_add_u64 v[8:9], v[10:11], 0, v[8:9]
	v_mad_u64_u32 v[12:13], s[2:3], v7, v1, 0
	v_add_co_u32_e32 v1, vcc, v8, v12
	v_mad_u64_u32 v[10:11], s[2:3], v7, v5, 0
	s_nop 0
	v_addc_co_u32_e32 v8, vcc, v9, v13, vcc
	v_mov_b32_e32 v9, v4
	s_nop 0
	v_addc_co_u32_e32 v11, vcc, 0, v11, vcc
	v_lshl_add_u64 v[8:9], v[8:9], 0, v[10:11]
	v_mul_lo_u32 v1, s25, v8
	v_mul_lo_u32 v5, s24, v9
	v_mad_u64_u32 v[10:11], s[2:3], s24, v8, 0
	v_add3_u32 v1, v11, v5, v1
	v_sub_u32_e32 v5, v7, v1
	v_mov_b32_e32 v11, s25
	v_sub_co_u32_e32 v14, vcc, v6, v10
	v_lshl_add_u64 v[12:13], v[8:9], 0, 1
	s_nop 0
	v_subb_co_u32_e64 v5, s[2:3], v5, v11, vcc
	v_subrev_co_u32_e64 v10, s[2:3], s24, v14
	v_subb_co_u32_e32 v1, vcc, v7, v1, vcc
	s_nop 0
	v_subbrev_co_u32_e64 v5, s[2:3], 0, v5, s[2:3]
	v_cmp_le_u32_e64 s[2:3], s25, v5
	v_cmp_le_u32_e32 vcc, s25, v1
	s_nop 0
	v_cndmask_b32_e64 v11, 0, -1, s[2:3]
	v_cmp_le_u32_e64 s[2:3], s24, v10
	s_nop 1
	v_cndmask_b32_e64 v10, 0, -1, s[2:3]
	v_cmp_eq_u32_e64 s[2:3], s25, v5
	s_nop 1
	v_cndmask_b32_e64 v5, v11, v10, s[2:3]
	v_lshl_add_u64 v[10:11], v[8:9], 0, 2
	v_cmp_ne_u32_e64 s[2:3], 0, v5
	s_nop 1
	v_cndmask_b32_e64 v5, v13, v11, s[2:3]
	v_cndmask_b32_e64 v11, 0, -1, vcc
	v_cmp_le_u32_e32 vcc, s24, v14
	s_nop 1
	v_cndmask_b32_e64 v13, 0, -1, vcc
	v_cmp_eq_u32_e32 vcc, s25, v1
	s_nop 1
	v_cndmask_b32_e32 v1, v11, v13, vcc
	v_cmp_ne_u32_e32 vcc, 0, v1
	v_cndmask_b32_e64 v1, v12, v10, s[2:3]
	s_nop 0
	v_cndmask_b32_e32 v23, v9, v5, vcc
	v_cndmask_b32_e32 v22, v8, v1, vcc
.LBB0_4:                                ;   in Loop: Header=BB0_2 Depth=1
	s_andn2_saveexec_b64 s[2:3], s[26:27]
	s_cbranch_execz .LBB0_6
; %bb.5:                                ;   in Loop: Header=BB0_2 Depth=1
	v_cvt_f32_u32_e32 v1, s24
	s_sub_i32 s26, 0, s24
	v_mov_b32_e32 v23, v4
	v_rcp_iflag_f32_e32 v1, v1
	s_nop 0
	v_mul_f32_e32 v1, 0x4f7ffffe, v1
	v_cvt_u32_f32_e32 v1, v1
	v_mul_lo_u32 v5, s26, v1
	v_mul_hi_u32 v5, v1, v5
	v_add_u32_e32 v1, v1, v5
	v_mul_hi_u32 v1, v6, v1
	v_mul_lo_u32 v5, v1, s24
	v_sub_u32_e32 v5, v6, v5
	v_add_u32_e32 v8, 1, v1
	v_subrev_u32_e32 v9, s24, v5
	v_cmp_le_u32_e32 vcc, s24, v5
	s_nop 1
	v_cndmask_b32_e32 v5, v5, v9, vcc
	v_cndmask_b32_e32 v1, v1, v8, vcc
	v_add_u32_e32 v8, 1, v1
	v_cmp_le_u32_e32 vcc, s24, v5
	s_nop 1
	v_cndmask_b32_e32 v22, v1, v8, vcc
.LBB0_6:                                ;   in Loop: Header=BB0_2 Depth=1
	s_or_b64 exec, exec, s[2:3]
	v_mad_u64_u32 v[8:9], s[2:3], v22, s24, 0
	s_load_dwordx2 s[2:3], s[18:19], 0x0
	v_mul_lo_u32 v1, v23, s24
	v_mul_lo_u32 v5, v22, s25
	s_load_dwordx2 s[24:25], s[16:17], 0x0
	s_add_u32 s22, s22, 1
	v_add3_u32 v1, v9, v5, v1
	v_sub_co_u32_e32 v5, vcc, v6, v8
	s_addc_u32 s23, s23, 0
	s_nop 0
	v_subb_co_u32_e32 v1, vcc, v7, v1, vcc
	s_add_u32 s16, s16, 8
	s_waitcnt lgkmcnt(0)
	v_mul_lo_u32 v6, s2, v1
	v_mul_lo_u32 v7, s3, v5
	v_mad_u64_u32 v[2:3], s[2:3], s2, v5, v[2:3]
	s_addc_u32 s17, s17, 0
	v_add3_u32 v3, v7, v3, v6
	v_mul_lo_u32 v1, s24, v1
	v_mul_lo_u32 v6, s25, v5
	v_mad_u64_u32 v[20:21], s[2:3], s24, v5, v[20:21]
	s_add_u32 s18, s18, 8
	v_add3_u32 v21, v6, v21, v1
	s_addc_u32 s19, s19, 0
	v_mov_b64_e32 v[6:7], s[10:11]
	s_add_u32 s20, s20, 8
	v_cmp_ge_u64_e32 vcc, s[22:23], v[6:7]
	s_addc_u32 s21, s21, 0
	s_cbranch_vccnz .LBB0_9
; %bb.7:                                ;   in Loop: Header=BB0_2 Depth=1
	v_mov_b64_e32 v[6:7], v[22:23]
	s_branch .LBB0_2
.LBB0_8:
	v_mov_b64_e32 v[20:21], v[2:3]
	v_mov_b64_e32 v[22:23], v[6:7]
.LBB0_9:
	s_load_dwordx2 s[18:19], s[0:1], 0x28
	s_lshl_b64 s[16:17], s[10:11], 3
	s_add_u32 s2, s14, s16
	s_addc_u32 s3, s15, s17
                                        ; implicit-def: $vgpr24
                                        ; implicit-def: $vgpr26
                                        ; implicit-def: $vgpr34
                                        ; implicit-def: $vgpr32
                                        ; implicit-def: $vgpr30
                                        ; implicit-def: $vgpr28
	s_waitcnt lgkmcnt(0)
	v_cmp_gt_u64_e64 s[0:1], s[18:19], v[22:23]
	v_cmp_le_u64_e32 vcc, s[18:19], v[22:23]
	s_and_saveexec_b64 s[10:11], vcc
	s_xor_b64 s[10:11], exec, s[10:11]
; %bb.10:
	s_mov_b32 s14, 0x4924925
	v_mul_hi_u32 v1, v0, s14
	v_mul_u32_u24_e32 v1, 56, v1
	v_sub_u32_e32 v24, v0, v1
	v_add_u32_e32 v26, 56, v24
	v_add_u32_e32 v34, 0x70, v24
	;; [unrolled: 1-line block ×5, first 2 shown]
                                        ; implicit-def: $vgpr0
                                        ; implicit-def: $vgpr2_vgpr3
; %bb.11:
	s_andn2_saveexec_b64 s[10:11], s[10:11]
	s_cbranch_execz .LBB0_13
; %bb.12:
	s_add_u32 s12, s12, s16
	s_addc_u32 s13, s13, s17
	s_load_dwordx2 s[12:13], s[12:13], 0x0
	s_mov_b32 s14, 0x4924925
	s_waitcnt lgkmcnt(0)
	v_mul_lo_u32 v1, s13, v22
	v_mul_lo_u32 v6, s12, v23
	v_mad_u64_u32 v[4:5], s[12:13], s12, v22, 0
	v_add3_u32 v5, v5, v6, v1
	v_mul_hi_u32 v1, v0, s14
	v_mul_u32_u24_e32 v1, 56, v1
	v_sub_u32_e32 v24, v0, v1
	v_lshl_add_u64 v[0:1], v[4:5], 3, s[4:5]
	v_lshl_add_u64 v[0:1], v[2:3], 3, v[0:1]
	v_lshlrev_b32_e32 v2, 3, v24
	v_mov_b32_e32 v3, 0
	v_lshl_add_u64 v[0:1], v[0:1], 0, v[2:3]
	global_load_dwordx2 v[4:5], v[0:1], off
	global_load_dwordx2 v[6:7], v[0:1], off offset:448
	global_load_dwordx2 v[8:9], v[0:1], off offset:896
	;; [unrolled: 1-line block ×7, first 2 shown]
	v_add_co_u32_e32 v26, vcc, 0x1000, v0
	v_add_u32_e32 v34, 0x70, v24
	s_nop 0
	v_addc_co_u32_e32 v27, vcc, 0, v1, vcc
	global_load_dwordx2 v[36:37], v[0:1], off offset:3584
	global_load_dwordx2 v[38:39], v[0:1], off offset:4032
	;; [unrolled: 1-line block ×4, first 2 shown]
	v_add_u32_e32 v0, 0, v2
	v_add_u32_e32 v26, 56, v24
	;; [unrolled: 1-line block ×7, first 2 shown]
	s_waitcnt vmcnt(10)
	ds_write2_b64 v0, v[4:5], v[6:7] offset1:56
	s_waitcnt vmcnt(8)
	ds_write2_b64 v0, v[8:9], v[10:11] offset0:112 offset1:168
	s_waitcnt vmcnt(6)
	ds_write2_b64 v1, v[12:13], v[14:15] offset0:96 offset1:152
	;; [unrolled: 2-line block ×4, first 2 shown]
	v_add_u32_e32 v0, 0x1000, v0
	s_waitcnt vmcnt(0)
	ds_write2_b64 v0, v[40:41], v[42:43] offset0:48 offset1:104
.LBB0_13:
	s_or_b64 exec, exec, s[10:11]
	v_lshlrev_b32_e32 v25, 3, v24
	v_add_u32_e32 v29, 0, v25
	v_add_u32_e32 v5, 0x400, v29
	;; [unrolled: 1-line block ×3, first 2 shown]
	s_load_dwordx2 s[4:5], s[2:3], 0x0
	s_waitcnt lgkmcnt(0)
	; wave barrier
	s_waitcnt lgkmcnt(0)
	ds_read2_b64 v[0:3], v5 offset0:96 offset1:152
	ds_read2_b64 v[10:13], v8 offset0:48 offset1:104
	v_add_u32_e32 v6, 0x800, v29
	ds_read2_b64 v[16:19], v6 offset0:192 offset1:248
	v_add_u32_e32 v7, v29, v25
	v_and_b32_e32 v72, 1, v24
	s_waitcnt lgkmcnt(1)
	v_pk_add_f32 v[40:41], v[2:3], v[12:13] neg_lo:[0,1] neg_hi:[0,1]
	v_pk_add_f32 v[10:11], v[0:1], v[10:11] neg_lo:[0,1] neg_hi:[0,1]
	v_pk_fma_f32 v[42:43], v[2:3], 2.0, v[40:41] op_sel_hi:[1,0,1] neg_lo:[0,0,1] neg_hi:[0,0,1]
	ds_read2_b64 v[12:15], v29 offset0:112 offset1:168
	v_pk_fma_f32 v[44:45], v[0:1], 2.0, v[10:11] op_sel_hi:[1,0,1] neg_lo:[0,0,1] neg_hi:[0,0,1]
	ds_read2_b64 v[0:3], v29 offset1:56
	ds_read2_b64 v[36:39], v6 offset0:80 offset1:136
	v_lshl_add_u32 v4, v26, 4, 0
	v_lshl_add_u32 v55, v34, 4, 0
	s_waitcnt lgkmcnt(2)
	v_pk_add_f32 v[18:19], v[14:15], v[18:19] neg_lo:[0,1] neg_hi:[0,1]
	v_pk_add_f32 v[16:17], v[12:13], v[16:17] neg_lo:[0,1] neg_hi:[0,1]
	s_waitcnt lgkmcnt(0)
	v_pk_add_f32 v[36:37], v[0:1], v[36:37] neg_lo:[0,1] neg_hi:[0,1]
	v_pk_add_f32 v[38:39], v[2:3], v[38:39] neg_lo:[0,1] neg_hi:[0,1]
	v_pk_fma_f32 v[0:1], v[0:1], 2.0, v[36:37] op_sel_hi:[1,0,1] neg_lo:[0,0,1] neg_hi:[0,0,1]
	v_lshl_add_u32 v54, v32, 4, 0
	v_lshl_add_u32 v53, v30, 4, 0
	;; [unrolled: 1-line block ×3, first 2 shown]
	v_pk_fma_f32 v[14:15], v[14:15], 2.0, v[18:19] op_sel_hi:[1,0,1] neg_lo:[0,0,1] neg_hi:[0,0,1]
	v_pk_fma_f32 v[12:13], v[12:13], 2.0, v[16:17] op_sel_hi:[1,0,1] neg_lo:[0,0,1] neg_hi:[0,0,1]
	;; [unrolled: 1-line block ×3, first 2 shown]
	s_waitcnt lgkmcnt(0)
	; wave barrier
	ds_write2_b64 v7, v[0:1], v[36:37] offset1:1
	ds_write2_b64 v4, v[2:3], v[38:39] offset1:1
	;; [unrolled: 1-line block ×6, first 2 shown]
	v_lshlrev_b32_e32 v0, 3, v72
	s_waitcnt lgkmcnt(0)
	; wave barrier
	s_waitcnt lgkmcnt(0)
	global_load_dwordx2 v[40:41], v0, s[8:9]
	v_lshlrev_b32_e32 v9, 1, v24
	s_movk_i32 s2, 0x7c
	v_lshlrev_b32_e32 v7, 3, v26
	v_lshlrev_b32_e32 v31, 3, v34
	;; [unrolled: 1-line block ×5, first 2 shown]
	v_and_or_b32 v12, v9, s2, v72
	v_sub_u32_e32 v0, v4, v7
	v_sub_u32_e32 v1, v55, v31
	;; [unrolled: 1-line block ×5, first 2 shown]
	v_lshl_add_u32 v74, v12, 3, 0
	ds_read2_b64 v[12:15], v8 offset0:48 offset1:104
	ds_read2_b64 v[16:19], v6 offset0:192 offset1:248
	;; [unrolled: 1-line block ×3, first 2 shown]
	ds_read_b64 v[42:43], v29
	ds_read_b64 v[44:45], v0
	;; [unrolled: 1-line block ×6, first 2 shown]
	s_movk_i32 s3, 0xfc
	v_lshlrev_b32_e32 v11, 1, v26
	v_and_or_b32 v73, v11, s3, v72
	s_waitcnt lgkmcnt(0)
	; wave barrier
	s_waitcnt lgkmcnt(0)
	s_movk_i32 s2, 0x1fc
	v_lshlrev_b32_e32 v75, 1, v30
	v_lshlrev_b32_e32 v76, 1, v28
	s_movk_i32 s3, 0xf8
	s_movk_i32 s10, 0x1f0
	;; [unrolled: 1-line block ×4, first 2 shown]
	v_and_b32_e32 v84, 31, v32
	v_cmp_gt_u32_e32 vcc, 40, v24
	s_waitcnt vmcnt(0)
	v_pk_mul_f32 v[58:59], v[40:41], v[14:15] op_sel:[0,1]
	v_pk_mul_f32 v[60:61], v[40:41], v[12:13] op_sel:[0,1]
	;; [unrolled: 1-line block ×6, first 2 shown]
	v_pk_fma_f32 v[70:71], v[40:41], v[14:15], v[58:59] op_sel:[0,0,1] op_sel_hi:[1,1,0] neg_lo:[0,0,1] neg_hi:[0,0,1]
	v_pk_fma_f32 v[14:15], v[40:41], v[14:15], v[58:59] op_sel:[0,0,1] op_sel_hi:[1,0,0]
	v_pk_fma_f32 v[58:59], v[40:41], v[12:13], v[60:61] op_sel:[0,0,1] op_sel_hi:[1,1,0] neg_lo:[0,0,1] neg_hi:[0,0,1]
	v_pk_fma_f32 v[12:13], v[40:41], v[12:13], v[60:61] op_sel:[0,0,1] op_sel_hi:[1,0,0]
	;; [unrolled: 2-line block ×6, first 2 shown]
	v_mov_b32_e32 v65, v39
	v_mov_b32_e32 v67, v37
	v_pk_add_f32 v[36:37], v[42:43], v[66:67] neg_lo:[0,1] neg_hi:[0,1]
	v_lshl_add_u32 v12, v73, 3, 0
	v_pk_fma_f32 v[38:39], v[42:43], 2.0, v[36:37] op_sel_hi:[1,0,1] neg_lo:[0,0,1] neg_hi:[0,0,1]
	ds_write2_b64 v74, v[38:39], v[36:37] offset1:2
	v_pk_add_f32 v[36:37], v[44:45], v[64:65] neg_lo:[0,1] neg_hi:[0,1]
	v_lshlrev_b32_e32 v73, 1, v34
	v_pk_fma_f32 v[38:39], v[44:45], 2.0, v[36:37] op_sel_hi:[1,0,1] neg_lo:[0,0,1] neg_hi:[0,0,1]
	ds_write2_b64 v12, v[38:39], v[36:37] offset1:2
	v_lshlrev_b32_e32 v74, 1, v32
	v_and_or_b32 v12, v73, s2, v72
	v_lshl_add_u32 v44, v12, 3, 0
	v_and_or_b32 v12, v74, s2, v72
	s_movk_i32 s2, 0x3fc
	v_lshl_add_u32 v45, v12, 3, 0
	v_and_or_b32 v12, v75, s2, v72
	s_movk_i32 s2, 0x2fc
	v_mov_b32_e32 v63, v17
	v_mov_b32_e32 v71, v15
	;; [unrolled: 1-line block ×4, first 2 shown]
	v_lshl_add_u32 v64, v12, 3, 0
	v_and_or_b32 v12, v76, s2, v72
	v_pk_add_f32 v[16:17], v[46:47], v[62:63] neg_lo:[0,1] neg_hi:[0,1]
	v_lshl_add_u32 v65, v12, 3, 0
	v_pk_add_f32 v[12:13], v[56:57], v[70:71] neg_lo:[0,1] neg_hi:[0,1]
	v_pk_add_f32 v[18:19], v[50:51], v[58:59] neg_lo:[0,1] neg_hi:[0,1]
	;; [unrolled: 1-line block ×3, first 2 shown]
	v_pk_fma_f32 v[42:43], v[46:47], 2.0, v[16:17] op_sel_hi:[1,0,1] neg_lo:[0,0,1] neg_hi:[0,0,1]
	v_and_b32_e32 v72, 3, v24
	v_pk_fma_f32 v[14:15], v[56:57], 2.0, v[12:13] op_sel_hi:[1,0,1] neg_lo:[0,0,1] neg_hi:[0,0,1]
	v_pk_fma_f32 v[36:37], v[50:51], 2.0, v[18:19] op_sel_hi:[1,0,1] neg_lo:[0,0,1] neg_hi:[0,0,1]
	;; [unrolled: 1-line block ×3, first 2 shown]
	ds_write2_b64 v44, v[42:43], v[16:17] offset1:2
	ds_write2_b64 v45, v[40:41], v[38:39] offset1:2
	ds_write2_b64 v64, v[36:37], v[18:19] offset1:2
	ds_write2_b64 v65, v[14:15], v[12:13] offset1:2
	v_lshlrev_b32_e32 v12, 3, v72
	s_waitcnt lgkmcnt(0)
	; wave barrier
	s_waitcnt lgkmcnt(0)
	global_load_dwordx2 v[40:41], v12, s[8:9] offset:16
	s_movk_i32 s2, 0x78
	v_and_or_b32 v12, v9, s2, v72
	v_and_or_b32 v13, v11, s3, v72
	v_lshl_add_u32 v77, v12, 3, 0
	v_lshl_add_u32 v78, v13, 3, 0
	ds_read2_b64 v[12:15], v8 offset0:48 offset1:104
	ds_read2_b64 v[16:19], v6 offset0:192 offset1:248
	;; [unrolled: 1-line block ×3, first 2 shown]
	ds_read_b64 v[42:43], v29
	ds_read_b64 v[44:45], v0
	;; [unrolled: 1-line block ×6, first 2 shown]
	s_movk_i32 s2, 0x1f8
	s_waitcnt lgkmcnt(0)
	; wave barrier
	s_waitcnt lgkmcnt(0)
	s_movk_i32 s3, 0xf0
	s_waitcnt vmcnt(0)
	v_pk_mul_f32 v[58:59], v[40:41], v[14:15] op_sel:[0,1]
	v_pk_mul_f32 v[60:61], v[40:41], v[12:13] op_sel:[0,1]
	;; [unrolled: 1-line block ×6, first 2 shown]
	v_pk_fma_f32 v[70:71], v[40:41], v[14:15], v[58:59] op_sel:[0,0,1] op_sel_hi:[1,1,0] neg_lo:[0,0,1] neg_hi:[0,0,1]
	v_pk_fma_f32 v[14:15], v[40:41], v[14:15], v[58:59] op_sel:[0,0,1] op_sel_hi:[1,0,0]
	v_pk_fma_f32 v[58:59], v[40:41], v[12:13], v[60:61] op_sel:[0,0,1] op_sel_hi:[1,1,0] neg_lo:[0,0,1] neg_hi:[0,0,1]
	v_pk_fma_f32 v[12:13], v[40:41], v[12:13], v[60:61] op_sel:[0,0,1] op_sel_hi:[1,0,0]
	;; [unrolled: 2-line block ×6, first 2 shown]
	v_mov_b32_e32 v65, v39
	v_mov_b32_e32 v67, v37
	;; [unrolled: 1-line block ×3, first 2 shown]
	v_pk_add_f32 v[12:13], v[42:43], v[66:67] neg_lo:[0,1] neg_hi:[0,1]
	v_mov_b32_e32 v71, v15
	v_pk_add_f32 v[14:15], v[44:45], v[64:65] neg_lo:[0,1] neg_hi:[0,1]
	v_pk_fma_f32 v[36:37], v[42:43], 2.0, v[12:13] op_sel_hi:[1,0,1] neg_lo:[0,0,1] neg_hi:[0,0,1]
	v_pk_fma_f32 v[38:39], v[44:45], 2.0, v[14:15] op_sel_hi:[1,0,1] neg_lo:[0,0,1] neg_hi:[0,0,1]
	ds_write2_b64 v77, v[36:37], v[12:13] offset1:4
	ds_write2_b64 v78, v[38:39], v[14:15] offset1:4
	v_and_or_b32 v12, v73, s2, v72
	v_lshl_add_u32 v44, v12, 3, 0
	v_and_or_b32 v12, v74, s2, v72
	s_movk_i32 s2, 0x3f8
	v_lshl_add_u32 v45, v12, 3, 0
	v_and_or_b32 v12, v75, s2, v72
	s_movk_i32 s2, 0x2f8
	v_mov_b32_e32 v63, v17
	v_mov_b32_e32 v61, v19
	v_lshl_add_u32 v64, v12, 3, 0
	v_and_or_b32 v12, v76, s2, v72
	v_pk_add_f32 v[16:17], v[46:47], v[62:63] neg_lo:[0,1] neg_hi:[0,1]
	v_lshl_add_u32 v65, v12, 3, 0
	v_pk_add_f32 v[12:13], v[56:57], v[70:71] neg_lo:[0,1] neg_hi:[0,1]
	v_pk_add_f32 v[18:19], v[50:51], v[58:59] neg_lo:[0,1] neg_hi:[0,1]
	;; [unrolled: 1-line block ×3, first 2 shown]
	v_pk_fma_f32 v[42:43], v[46:47], 2.0, v[16:17] op_sel_hi:[1,0,1] neg_lo:[0,0,1] neg_hi:[0,0,1]
	v_and_b32_e32 v72, 7, v24
	v_pk_fma_f32 v[14:15], v[56:57], 2.0, v[12:13] op_sel_hi:[1,0,1] neg_lo:[0,0,1] neg_hi:[0,0,1]
	v_pk_fma_f32 v[36:37], v[50:51], 2.0, v[18:19] op_sel_hi:[1,0,1] neg_lo:[0,0,1] neg_hi:[0,0,1]
	;; [unrolled: 1-line block ×3, first 2 shown]
	ds_write2_b64 v44, v[42:43], v[16:17] offset1:4
	ds_write2_b64 v45, v[40:41], v[38:39] offset1:4
	;; [unrolled: 1-line block ×4, first 2 shown]
	v_lshlrev_b32_e32 v12, 3, v72
	s_waitcnt lgkmcnt(0)
	; wave barrier
	s_waitcnt lgkmcnt(0)
	global_load_dwordx2 v[40:41], v12, s[8:9] offset:48
	s_movk_i32 s2, 0x70
	v_and_or_b32 v12, v9, s2, v72
	v_and_or_b32 v13, v11, s3, v72
	;; [unrolled: 1-line block ×5, first 2 shown]
	v_lshl_add_u32 v77, v12, 3, 0
	v_lshl_add_u32 v78, v13, 3, 0
	;; [unrolled: 1-line block ×5, first 2 shown]
	ds_read2_b64 v[12:15], v8 offset0:48 offset1:104
	ds_read2_b64 v[16:19], v6 offset0:192 offset1:248
	;; [unrolled: 1-line block ×3, first 2 shown]
	ds_read_b64 v[42:43], v29
	ds_read_b64 v[44:45], v0
	;; [unrolled: 1-line block ×6, first 2 shown]
	s_waitcnt lgkmcnt(0)
	; wave barrier
	s_waitcnt lgkmcnt(0)
	s_movk_i32 s2, 0xe0
	s_movk_i32 s10, 0x1e0
	;; [unrolled: 1-line block ×4, first 2 shown]
	s_waitcnt vmcnt(0)
	v_pk_mul_f32 v[58:59], v[40:41], v[14:15] op_sel:[0,1]
	v_pk_mul_f32 v[60:61], v[40:41], v[12:13] op_sel:[0,1]
	;; [unrolled: 1-line block ×6, first 2 shown]
	v_pk_fma_f32 v[70:71], v[40:41], v[14:15], v[58:59] op_sel:[0,0,1] op_sel_hi:[1,1,0] neg_lo:[0,0,1] neg_hi:[0,0,1]
	v_pk_fma_f32 v[14:15], v[40:41], v[14:15], v[58:59] op_sel:[0,0,1] op_sel_hi:[1,0,0]
	v_pk_fma_f32 v[58:59], v[40:41], v[12:13], v[60:61] op_sel:[0,0,1] op_sel_hi:[1,1,0] neg_lo:[0,0,1] neg_hi:[0,0,1]
	v_pk_fma_f32 v[12:13], v[40:41], v[12:13], v[60:61] op_sel:[0,0,1] op_sel_hi:[1,0,0]
	;; [unrolled: 2-line block ×6, first 2 shown]
	v_mov_b32_e32 v65, v39
	v_mov_b32_e32 v67, v37
	;; [unrolled: 1-line block ×3, first 2 shown]
	v_pk_add_f32 v[12:13], v[42:43], v[66:67] neg_lo:[0,1] neg_hi:[0,1]
	v_mov_b32_e32 v71, v15
	v_mov_b32_e32 v61, v19
	v_pk_add_f32 v[14:15], v[44:45], v[64:65] neg_lo:[0,1] neg_hi:[0,1]
	v_pk_fma_f32 v[18:19], v[42:43], 2.0, v[12:13] op_sel_hi:[1,0,1] neg_lo:[0,0,1] neg_hi:[0,0,1]
	v_pk_fma_f32 v[36:37], v[44:45], 2.0, v[14:15] op_sel_hi:[1,0,1] neg_lo:[0,0,1] neg_hi:[0,0,1]
	ds_write2_b64 v77, v[18:19], v[12:13] offset1:8
	ds_write2_b64 v78, v[36:37], v[14:15] offset1:8
	v_and_or_b32 v12, v76, s12, v72
	v_mov_b32_e32 v63, v17
	v_lshl_add_u32 v44, v12, 3, 0
	v_pk_add_f32 v[12:13], v[56:57], v[70:71] neg_lo:[0,1] neg_hi:[0,1]
	v_pk_add_f32 v[16:17], v[46:47], v[62:63] neg_lo:[0,1] neg_hi:[0,1]
	v_pk_fma_f32 v[14:15], v[56:57], 2.0, v[12:13] op_sel_hi:[1,0,1] neg_lo:[0,0,1] neg_hi:[0,0,1]
	v_pk_add_f32 v[18:19], v[50:51], v[58:59] neg_lo:[0,1] neg_hi:[0,1]
	v_pk_add_f32 v[38:39], v[48:49], v[60:61] neg_lo:[0,1] neg_hi:[0,1]
	v_pk_fma_f32 v[42:43], v[46:47], 2.0, v[16:17] op_sel_hi:[1,0,1] neg_lo:[0,0,1] neg_hi:[0,0,1]
	v_pk_fma_f32 v[36:37], v[50:51], 2.0, v[18:19] op_sel_hi:[1,0,1] neg_lo:[0,0,1] neg_hi:[0,0,1]
	;; [unrolled: 1-line block ×3, first 2 shown]
	ds_write2_b64 v79, v[42:43], v[16:17] offset1:8
	ds_write2_b64 v80, v[40:41], v[38:39] offset1:8
	;; [unrolled: 1-line block ×4, first 2 shown]
	v_and_b32_e32 v12, 15, v24
	v_and_b32_e32 v14, 15, v28
	v_lshlrev_b32_e32 v13, 3, v12
	v_lshlrev_b32_e32 v15, 3, v14
	s_waitcnt lgkmcnt(0)
	; wave barrier
	s_waitcnt lgkmcnt(0)
	global_load_dwordx2 v[40:41], v13, s[8:9] offset:112
	global_load_dwordx2 v[42:43], v15, s[8:9] offset:112
	v_and_b32_e32 v13, 15, v32
	v_lshlrev_b32_e32 v16, 3, v13
	v_and_b32_e32 v15, 15, v26
	global_load_dwordx2 v[44:45], v16, s[8:9] offset:112
	v_lshlrev_b32_e32 v16, 3, v15
	global_load_dwordx2 v[46:47], v16, s[8:9] offset:112
	s_movk_i32 s12, 0x2e0
	v_and_or_b32 v11, v11, s2, v15
	v_and_or_b32 v13, v74, s10, v13
	;; [unrolled: 1-line block ×6, first 2 shown]
	v_lshl_add_u32 v74, v9, 3, 0
	v_lshl_add_u32 v75, v11, 3, 0
	;; [unrolled: 1-line block ×6, first 2 shown]
	ds_read2_b64 v[12:15], v8 offset0:48 offset1:104
	ds_read2_b64 v[16:19], v6 offset0:192 offset1:248
	;; [unrolled: 1-line block ×3, first 2 shown]
	ds_read_b64 v[8:9], v3
	ds_read_b64 v[10:11], v10
	;; [unrolled: 1-line block ×6, first 2 shown]
	s_waitcnt lgkmcnt(0)
	; wave barrier
	s_waitcnt lgkmcnt(0)
	v_and_b32_e32 v81, 31, v34
	s_mov_b32 s2, 0x3f5db3d7
	s_waitcnt vmcnt(3)
	v_pk_mul_f32 v[62:63], v[40:41], v[12:13] op_sel:[0,1]
	s_waitcnt vmcnt(2)
	v_pk_mul_f32 v[60:61], v[42:43], v[14:15] op_sel:[0,1]
	v_pk_mul_f32 v[66:67], v[40:41], v[16:17] op_sel:[0,1]
	;; [unrolled: 1-line block ×3, first 2 shown]
	v_pk_fma_f32 v[72:73], v[42:43], v[14:15], v[60:61] op_sel:[0,0,1] op_sel_hi:[1,1,0] neg_lo:[0,0,1] neg_hi:[0,0,1]
	s_waitcnt vmcnt(1)
	v_pk_mul_f32 v[64:65], v[44:45], v[18:19] op_sel:[0,1]
	v_pk_fma_f32 v[14:15], v[42:43], v[14:15], v[60:61] op_sel:[0,0,1] op_sel_hi:[1,0,0]
	s_waitcnt vmcnt(0)
	v_pk_mul_f32 v[68:69], v[46:47], v[38:39] op_sel:[0,1]
	v_pk_fma_f32 v[42:43], v[40:41], v[12:13], v[62:63] op_sel:[0,0,1] op_sel_hi:[1,1,0] neg_lo:[0,0,1] neg_hi:[0,0,1]
	v_pk_fma_f32 v[12:13], v[40:41], v[12:13], v[62:63] op_sel:[0,0,1] op_sel_hi:[1,0,0]
	v_pk_fma_f32 v[60:61], v[44:45], v[18:19], v[64:65] op_sel:[0,0,1] op_sel_hi:[1,1,0] neg_lo:[0,0,1] neg_hi:[0,0,1]
	v_pk_fma_f32 v[18:19], v[44:45], v[18:19], v[64:65] op_sel:[0,0,1] op_sel_hi:[1,0,0]
	;; [unrolled: 2-line block ×5, first 2 shown]
	v_mov_b32_e32 v45, v17
	v_mov_b32_e32 v47, v37
	;; [unrolled: 1-line block ×6, first 2 shown]
	v_pk_add_f32 v[36:37], v[56:57], v[44:45] neg_lo:[0,1] neg_hi:[0,1]
	v_pk_add_f32 v[44:45], v[48:49], v[46:47] neg_lo:[0,1] neg_hi:[0,1]
	;; [unrolled: 1-line block ×6, first 2 shown]
	v_pk_fma_f32 v[46:47], v[48:49], 2.0, v[44:45] op_sel_hi:[1,0,1] neg_lo:[0,0,1] neg_hi:[0,0,1]
	v_pk_fma_f32 v[10:11], v[10:11], 2.0, v[12:13] op_sel_hi:[1,0,1] neg_lo:[0,0,1] neg_hi:[0,0,1]
	;; [unrolled: 1-line block ×6, first 2 shown]
	ds_write2_b64 v74, v[46:47], v[44:45] offset1:16
	ds_write2_b64 v75, v[42:43], v[40:41] offset1:16
	;; [unrolled: 1-line block ×6, first 2 shown]
	v_and_b32_e32 v77, 31, v26
	v_and_b32_e32 v40, 31, v24
	v_lshlrev_b32_e32 v12, 4, v77
	v_lshlrev_b32_e32 v8, 4, v81
	;; [unrolled: 1-line block ×3, first 2 shown]
	s_waitcnt lgkmcnt(0)
	; wave barrier
	s_waitcnt lgkmcnt(0)
	global_load_dwordx4 v[8:11], v8, s[8:9] offset:240
	v_lshlrev_b32_e32 v36, 4, v84
	global_load_dwordx4 v[12:15], v12, s[8:9] offset:240
	v_lshrrev_b32_e32 v41, 5, v24
	global_load_dwordx4 v[16:19], v16, s[8:9] offset:240
	v_mul_u32_u24_e32 v41, 0x60, v41
	global_load_dwordx4 v[36:39], v36, s[8:9] offset:240
	v_add_u32_e32 v44, 0xc00, v29
	v_or_b32_e32 v40, v41, v40
	v_lshl_add_u32 v85, v40, 3, 0
	ds_read2_b64 v[40:43], v6 offset0:24 offset1:80
	ds_read2_b64 v[44:47], v44 offset0:120 offset1:176
	ds_read_b64 v[56:57], v3
	ds_read_b64 v[58:59], v2
	ds_read2_b64 v[48:51], v6 offset0:136 offset1:192
	ds_read_b64 v[60:61], v1
	ds_read_b64 v[62:63], v0
	ds_read_b64 v[0:1], v29 offset:4928
	ds_read_b64 v[2:3], v29
	s_waitcnt lgkmcnt(0)
	; wave barrier
	s_waitcnt vmcnt(3) lgkmcnt(0)
	v_pk_mul_f32 v[64:65], v[8:9], v[42:43] op_sel:[0,1]
	s_nop 0
	v_pk_fma_f32 v[82:83], v[8:9], v[42:43], v[64:65] op_sel:[0,0,1] op_sel_hi:[1,1,0] neg_lo:[0,0,1] neg_hi:[0,0,1]
	s_waitcnt vmcnt(2)
	v_pk_mul_f32 v[66:67], v[12:13], v[40:41] op_sel:[0,1]
	v_pk_mul_f32 v[68:69], v[14:15], v[44:45] op_sel:[0,1]
	s_waitcnt vmcnt(1)
	v_pk_mul_f32 v[72:73], v[16:17], v[56:57] op_sel:[0,1]
	v_pk_mul_f32 v[74:75], v[18:19], v[50:51] op_sel:[0,1]
	v_pk_fma_f32 v[8:9], v[8:9], v[42:43], v[64:65] op_sel:[0,0,1] op_sel_hi:[1,0,0]
	v_pk_fma_f32 v[64:65], v[12:13], v[40:41], v[66:67] op_sel:[0,0,1] op_sel_hi:[1,1,0] neg_lo:[0,0,1] neg_hi:[0,0,1]
	v_pk_fma_f32 v[12:13], v[12:13], v[40:41], v[66:67] op_sel:[0,0,1] op_sel_hi:[1,0,0]
	v_pk_fma_f32 v[66:67], v[14:15], v[44:45], v[68:69] op_sel:[0,0,1] op_sel_hi:[1,1,0] neg_lo:[0,0,1] neg_hi:[0,0,1]
	;; [unrolled: 2-line block ×4, first 2 shown]
	v_pk_fma_f32 v[18:19], v[18:19], v[50:51], v[74:75] op_sel:[0,0,1] op_sel_hi:[1,0,0]
	v_mov_b32_e32 v70, v11
	s_waitcnt vmcnt(0)
	v_mov_b32_e32 v80, v39
	v_mov_b32_e32 v45, v17
	;; [unrolled: 1-line block ×3, first 2 shown]
	v_pk_mul_f32 v[42:43], v[46:47], v[70:71] op_sel_hi:[1,0]
	v_pk_mul_f32 v[68:69], v[0:1], v[80:81] op_sel:[1,0] op_sel_hi:[0,1]
	v_pk_add_f32 v[16:17], v[44:45], v[56:57]
	v_pk_add_f32 v[18:19], v[44:45], v[56:57] neg_lo:[0,1] neg_hi:[0,1]
	v_pk_mul_f32 v[40:41], v[0:1], v[38:39] op_sel:[1,0] op_sel_hi:[0,1]
	v_pk_fma_f32 v[72:73], v[46:47], v[10:11], v[42:43] op_sel:[0,0,1] op_sel_hi:[1,1,0] neg_lo:[0,0,1] neg_hi:[0,0,1]
	v_pk_fma_f32 v[10:11], v[46:47], v[10:11], v[42:43] op_sel:[0,0,1] op_sel_hi:[1,0,0]
	v_pk_fma_f32 v[46:47], v[0:1], v[38:39], v[68:69] neg_lo:[0,0,1] neg_hi:[0,0,1]
	v_pk_add_f32 v[0:1], v[2:3], v[44:45]
	v_pk_fma_f32 v[2:3], v[16:17], 0.5, v[2:3] op_sel_hi:[1,0,1] neg_lo:[1,0,0] neg_hi:[1,0,0]
	v_pk_mul_f32 v[16:17], v[18:19], s[2:3] op_sel_hi:[1,0]
	v_mov_b32_e32 v76, v37
	v_pk_add_f32 v[18:19], v[2:3], v[16:17] op_sel:[0,1] op_sel_hi:[1,0]
	v_pk_add_f32 v[16:17], v[2:3], v[16:17] op_sel:[0,1] op_sel_hi:[1,0] neg_lo:[0,1] neg_hi:[0,1]
	v_pk_mul_f32 v[78:79], v[48:49], v[36:37] op_sel:[1,0] op_sel_hi:[0,1]
	v_pk_add_f32 v[0:1], v[0:1], v[56:57]
	v_mov_b32_e32 v2, v18
	v_mov_b32_e32 v3, v17
	;; [unrolled: 1-line block ×4, first 2 shown]
	v_pk_mul_f32 v[50:51], v[48:49], v[76:77] op_sel:[1,0] op_sel_hi:[0,1]
	v_mov_b32_e32 v70, v78
	v_mov_b32_e32 v71, v40
	ds_write2_b64 v85, v[0:1], v[2:3] offset1:32
	v_mov_b32_e32 v40, v79
	v_pk_add_f32 v[2:3], v[82:83], v[72:73]
	v_pk_add_f32 v[8:9], v[82:83], v[72:73] neg_lo:[0,1] neg_hi:[0,1]
	v_pk_fma_f32 v[36:37], v[48:49], v[36:37], v[50:51] neg_lo:[0,0,1] neg_hi:[0,0,1]
	v_pk_add_f32 v[0:1], v[70:71], v[40:41]
	v_pk_fma_f32 v[2:3], v[2:3], 0.5, v[60:61] op_sel_hi:[1,0,1] neg_lo:[1,0,0] neg_hi:[1,0,0]
	v_pk_mul_f32 v[8:9], v[8:9], s[2:3] op_sel_hi:[1,0]
	v_pk_add_f32 v[10:11], v[58:59], v[36:37]
	v_pk_add_f32 v[38:39], v[2:3], v[8:9] op_sel:[0,1] op_sel_hi:[1,0]
	v_pk_add_f32 v[42:43], v[2:3], v[8:9] op_sel:[0,1] op_sel_hi:[1,0] neg_lo:[0,1] neg_hi:[0,1]
	v_mov_b32_e32 v2, v0
	v_mov_b32_e32 v3, v36
	;; [unrolled: 1-line block ×6, first 2 shown]
	v_pk_add_f32 v[8:9], v[2:3], v[8:9] neg_lo:[0,1] neg_hi:[0,1]
	v_pk_add_f32 v[2:3], v[36:37], v[46:47]
	v_mov_b32_e32 v12, v59
	v_pk_fma_f32 v[36:37], v[2:3], 0.5, v[58:59] op_sel_hi:[1,0,1] neg_lo:[1,0,0] neg_hi:[1,0,0]
	v_mov_b32_e32 v65, v13
	v_pk_fma_f32 v[2:3], v[8:9], s[2:3], v[36:37] op_sel_hi:[1,0,1]
	v_pk_fma_f32 v[40:41], v[8:9], s[2:3], v[36:37] op_sel_hi:[1,0,1] neg_lo:[1,0,0] neg_hi:[1,0,0]
	v_pk_mul_f32 v[8:9], v[8:9], s[2:3] op_sel_hi:[1,0]
	v_mov_b32_e32 v3, v41
	v_pk_add_f32 v[40:41], v[12:13], v[0:1]
	v_mov_b32_e32 v0, v1
	v_pk_add_f32 v[44:45], v[40:41], v[0:1]
	v_mov_b32_e32 v1, v8
	v_mov_b32_e32 v11, v36
	v_pk_add_f32 v[0:1], v[10:11], v[0:1] neg_lo:[0,1] neg_hi:[0,1]
	v_mov_b32_e32 v11, v37
	v_mov_b32_e32 v47, v9
	v_lshrrev_b32_e32 v8, 5, v34
	v_lshrrev_b32_e32 v9, 5, v32
	v_mov_b32_e32 v67, v15
	v_pk_add_f32 v[40:41], v[10:11], v[46:47]
	v_lshrrev_b32_e32 v0, 5, v26
	v_mul_lo_u32 v8, v8, s3
	v_mul_lo_u32 v9, v9, s3
	v_pk_add_f32 v[10:11], v[64:65], v[66:67]
	v_pk_add_f32 v[12:13], v[64:65], v[66:67] neg_lo:[0,1] neg_hi:[0,1]
	v_mul_lo_u32 v0, v0, s3
	v_or_b32_e32 v8, v8, v81
	v_or_b32_e32 v9, v9, v84
	v_pk_fma_f32 v[10:11], v[10:11], 0.5, v[62:63] op_sel_hi:[1,0,1] neg_lo:[1,0,0] neg_hi:[1,0,0]
	v_pk_mul_f32 v[12:13], v[12:13], s[2:3] op_sel_hi:[1,0]
	v_or_b32_e32 v0, v0, v77
	v_mov_b32_e32 v36, v38
	v_lshl_add_u32 v18, v8, 3, 0
	v_lshl_add_u32 v38, v9, 3, 0
	v_pk_add_f32 v[8:9], v[62:63], v[64:65]
	v_pk_add_f32 v[14:15], v[10:11], v[12:13] op_sel:[0,1] op_sel_hi:[1,0]
	v_pk_add_f32 v[10:11], v[10:11], v[12:13] op_sel:[0,1] op_sel_hi:[1,0] neg_lo:[0,1] neg_hi:[0,1]
	v_lshl_add_u32 v0, v0, 3, 0
	v_mov_b32_e32 v17, v19
	v_pk_add_f32 v[8:9], v[8:9], v[66:67]
	v_mov_b32_e32 v12, v14
	v_mov_b32_e32 v13, v11
	ds_write_b64 v85, v[16:17] offset:512
	ds_write2_b64 v0, v[8:9], v[12:13] offset1:32
	v_pk_add_f32 v[8:9], v[60:61], v[82:83]
	v_mov_b32_e32 v37, v43
	v_mov_b32_e32 v11, v15
	v_pk_add_f32 v[8:9], v[8:9], v[72:73]
	ds_write_b64 v0, v[10:11] offset:512
	ds_write2_b64 v18, v[8:9], v[36:37] offset1:32
	v_mov_b32_e32 v43, v39
	v_mov_b32_e32 v8, v40
	;; [unrolled: 1-line block ×3, first 2 shown]
	ds_write_b64 v18, v[42:43] offset:512
	ds_write2_b64 v38, v[8:9], v[2:3] offset1:32
	v_mov_b32_e32 v8, v1
	v_mov_b32_e32 v9, v41
	ds_write_b64 v38, v[8:9] offset:512
	s_waitcnt lgkmcnt(0)
	; wave barrier
	s_waitcnt lgkmcnt(0)
	ds_read2_b64 v[8:11], v29 offset1:96
	ds_read2_b64 v[16:19], v5 offset0:64 offset1:160
	ds_read2_b64 v[12:15], v6 offset0:128 offset1:224
	ds_read_b64 v[50:51], v29 offset:4608
	v_sub_u32_e32 v5, 0, v7
	v_cmp_lt_u32_e64 s[2:3], 39, v24
                                        ; implicit-def: $vgpr0
                                        ; implicit-def: $vgpr48_vgpr49
                                        ; implicit-def: $vgpr46_vgpr47
	s_and_saveexec_b64 s[10:11], s[2:3]
	s_xor_b64 s[2:3], exec, s[10:11]
; %bb.14:
	v_mov_b32_e32 v45, v1
	v_mov_b32_e32 v0, v2
	v_mov_b64_e32 v[48:49], v[2:3]
	v_mov_b64_e32 v[46:47], v[44:45]
; %bb.15:
	s_or_saveexec_b64 s[2:3], s[2:3]
	v_add_u32_e32 v43, v4, v5
                                        ; implicit-def: $vgpr5
	s_xor_b64 exec, exec, s[2:3]
	s_cbranch_execz .LBB0_17
; %bb.16:
	v_add_u32_e32 v0, 0x400, v29
	ds_read2_b32 v[44:45], v0 offset0:240 offset1:241
	v_add_u32_e32 v0, 0x800, v29
	v_add_u32_e32 v4, 0x1000, v29
	ds_read2_b64 v[0:3], v0 offset0:88 offset1:184
	ds_read_b64 v[36:37], v43
	ds_read_b64 v[38:39], v29 offset:1216
	ds_read2_b64 v[4:7], v4 offset0:24 offset1:120
	s_waitcnt lgkmcnt(4)
	v_mov_b32_e32 v46, v45
	s_waitcnt lgkmcnt(3)
	v_mov_b32_e32 v47, v2
	v_mov_b32_e32 v40, v44
	;; [unrolled: 1-line block ×3, first 2 shown]
	s_waitcnt lgkmcnt(0)
	v_mov_b32_e32 v48, v4
	v_mov_b32_e32 v49, v1
	;; [unrolled: 1-line block ×7, first 2 shown]
.LBB0_17:
	s_or_b64 exec, exec, s[2:3]
	v_mul_u32_u24_e32 v1, 6, v24
	v_lshlrev_b32_e32 v1, 3, v1
	global_load_dwordx4 v[56:59], v1, s[8:9] offset:752
	global_load_dwordx4 v[60:63], v1, s[8:9] offset:768
	;; [unrolled: 1-line block ×3, first 2 shown]
	s_waitcnt lgkmcnt(1)
	v_mov_b32_e32 v68, v14
	v_mov_b32_e32 v69, v19
	;; [unrolled: 1-line block ×9, first 2 shown]
	s_waitcnt lgkmcnt(0)
	v_mov_b32_e32 v38, v51
	s_mov_b32 s10, 0x3eae86e6
	s_mov_b32 s11, 0xbf08b237
	;; [unrolled: 1-line block ×10, first 2 shown]
	s_waitcnt lgkmcnt(0)
	; wave barrier
	s_mov_b32 s14, 0x3f5ff5aa
	s_mov_b32 s16, 0x3f3bfb3b
	s_waitcnt vmcnt(2)
	v_pk_mul_f32 v[76:77], v[56:57], v[10:11] op_sel_hi:[1,0]
	v_mul_f32_e32 v1, v59, v17
	s_waitcnt vmcnt(1)
	v_mul_f32_e32 v17, v60, v19
	v_mov_b32_e32 v80, v59
	v_mov_b32_e32 v81, v63
	v_mul_f32_e32 v63, v63, v12
	s_waitcnt vmcnt(0)
	v_mul_f32_e32 v12, v65, v15
	v_mov_b32_e32 v83, v60
	v_mov_b32_e32 v60, v65
	v_mul_f32_e32 v19, v61, v18
	v_mov_b32_e32 v78, v58
	v_mov_b32_e32 v79, v62
	;; [unrolled: 1-line block ×3, first 2 shown]
	v_pk_mul_f32 v[84:85], v[66:67], v[50:51] op_sel_hi:[1,0]
	v_pk_fma_f32 v[86:87], v[56:57], v[4:5], v[76:77] op_sel:[0,0,1] op_sel_hi:[1,1,0]
	v_pk_fma_f32 v[10:11], v[56:57], v[10:11], v[76:77] op_sel:[0,1,1] op_sel_hi:[1,1,0] neg_lo:[1,0,0] neg_hi:[1,0,0]
	v_pk_mul_f32 v[56:57], v[80:81], v[74:75]
	v_fma_f32 v18, v64, v14, -v12
	v_pk_mul_f32 v[14:15], v[60:61], v[68:69]
	v_fma_f32 v16, v58, v16, -v1
	v_pk_fma_f32 v[60:61], v[66:67], v[38:39], v[84:85] op_sel:[0,0,1] op_sel_hi:[1,1,0]
	v_pk_fma_f32 v[50:51], v[66:67], v[50:51], v[84:85] op_sel:[0,1,1] op_sel_hi:[1,1,0] neg_lo:[1,0,0] neg_hi:[1,0,0]
	v_pk_fma_f32 v[58:59], v[58:59], v[72:73], v[56:57]
	v_pk_fma_f32 v[56:57], v[78:79], v[72:73], v[56:57] neg_lo:[0,0,1] neg_hi:[0,0,1]
	v_pk_fma_f32 v[64:65], v[64:65], v[70:71], v[14:15]
	v_pk_fma_f32 v[14:15], v[82:83], v[70:71], v[14:15] neg_lo:[0,0,1] neg_hi:[0,0,1]
	v_mul_f32_e32 v13, v62, v13
	v_mov_b32_e32 v87, v11
	v_mov_b32_e32 v61, v51
	;; [unrolled: 1-line block ×6, first 2 shown]
	v_pk_add_f32 v[10:11], v[16:17], v[18:19]
	v_pk_add_f32 v[50:51], v[86:87], v[60:61]
	;; [unrolled: 1-line block ×4, first 2 shown]
	v_mov_b32_e32 v17, v16
	v_mov_b32_e32 v19, v18
	;; [unrolled: 1-line block ×8, first 2 shown]
	v_pk_add_f32 v[60:61], v[86:87], v[60:61] neg_lo:[0,1] neg_hi:[0,1]
	v_pk_add_f32 v[68:69], v[10:11], v[12:13]
	v_pk_add_f32 v[16:17], v[16:17], v[18:19] neg_lo:[0,1] neg_hi:[0,1]
	v_pk_add_f32 v[14:15], v[14:15], v[56:57]
	v_pk_add_f32 v[58:59], v[58:59], v[64:65] neg_lo:[0,1] neg_hi:[0,1]
	v_mov_b32_e32 v67, v61
	v_mov_b32_e32 v71, v50
	;; [unrolled: 1-line block ×9, first 2 shown]
	v_pk_add_f32 v[66:67], v[66:67], v[58:59] neg_lo:[0,1] neg_hi:[0,1]
	v_mov_b32_e32 v18, v14
	v_pk_add_f32 v[14:15], v[68:69], v[14:15]
	v_pk_add_f32 v[68:69], v[70:71], v[10:11] neg_lo:[0,1] neg_hi:[0,1]
	v_pk_add_f32 v[64:65], v[64:65], v[16:17] neg_lo:[0,1] neg_hi:[0,1]
	v_pk_add_f32 v[72:73], v[58:59], v[16:17]
	v_pk_mul_f32 v[66:67], v[66:67], s[12:13]
	v_pk_add_f32 v[18:19], v[12:13], v[18:19] neg_lo:[0,1] neg_hi:[0,1]
	v_pk_add_f32 v[8:9], v[14:15], v[8:9]
	v_pk_mul_f32 v[68:69], v[68:69], s[18:19]
	v_pk_mul_f32 v[56:57], v[64:65], s[10:11]
	v_pk_add_f32 v[72:73], v[72:73], v[60:61]
	v_pk_mul_f32 v[70:71], v[18:19], s[20:21]
	v_pk_fma_f32 v[14:15], v[14:15], s[22:23], v[8:9] op_sel_hi:[1,0,1]
	v_pk_fma_f32 v[18:19], v[18:19], s[20:21], v[68:69]
	v_pk_fma_f32 v[64:65], v[64:65], s[10:11], v[66:67]
	v_pk_add_f32 v[18:19], v[18:19], v[14:15]
	v_pk_fma_f32 v[64:65], v[72:73], s[2:3], v[64:65] op_sel_hi:[1,0,1]
	v_mov_b32_e32 v59, v17
	v_pk_add_f32 v[74:75], v[18:19], v[64:65]
	v_pk_add_f32 v[18:19], v[18:19], v[64:65] neg_lo:[0,1] neg_hi:[0,1]
	v_mov_b32_e32 v64, v74
	v_mov_b32_e32 v65, v19
	;; [unrolled: 1-line block ×4, first 2 shown]
	ds_write2_b64 v29, v[8:9], v[64:65] offset1:96
	v_pk_add_f32 v[8:9], v[58:59], v[60:61] neg_lo:[0,1] neg_hi:[0,1]
	v_pk_add_f32 v[10:11], v[10:11], v[12:13] neg_lo:[0,1] neg_hi:[0,1]
	v_mov_b32_e32 v12, v70
	v_mov_b32_e32 v13, v69
	;; [unrolled: 1-line block ×6, first 2 shown]
	v_pk_fma_f32 v[12:13], v[10:11], s[16:17], v[12:13] op_sel_hi:[1,0,1] neg_lo:[1,0,1] neg_hi:[1,0,1]
	v_pk_fma_f32 v[16:17], v[8:9], s[14:15], v[16:17] op_sel_hi:[1,0,1] neg_lo:[1,0,1] neg_hi:[1,0,1]
	;; [unrolled: 1-line block ×4, first 2 shown]
	v_pk_add_f32 v[12:13], v[12:13], v[14:15]
	v_pk_fma_f32 v[16:17], v[72:73], s[2:3], v[16:17] op_sel_hi:[1,0,1]
	v_pk_add_f32 v[10:11], v[10:11], v[14:15]
	v_pk_fma_f32 v[8:9], v[72:73], s[2:3], v[8:9] op_sel_hi:[1,0,1]
	v_pk_add_f32 v[50:51], v[12:13], v[16:17]
	v_pk_add_f32 v[12:13], v[12:13], v[16:17] neg_lo:[0,1] neg_hi:[0,1]
	v_pk_add_f32 v[14:15], v[10:11], v[8:9] neg_lo:[0,1] neg_hi:[0,1]
	v_pk_add_f32 v[8:9], v[10:11], v[8:9]
	v_mov_b32_e32 v16, v50
	v_mov_b32_e32 v17, v13
	;; [unrolled: 1-line block ×4, first 2 shown]
	v_add_u32_e32 v1, 0x400, v29
	v_mov_b32_e32 v9, v15
	v_mov_b32_e32 v13, v51
	v_add_u32_e32 v4, 0x800, v29
	v_mov_b32_e32 v19, v75
	ds_write2_b64 v1, v[16:17], v[10:11] offset0:64 offset1:160
	ds_write2_b64 v4, v[8:9], v[12:13] offset0:128 offset1:224
	ds_write_b64 v29, v[18:19] offset:4608
	s_and_saveexec_b64 s[24:25], vcc
	s_cbranch_execz .LBB0_19
; %bb.18:
	v_subrev_u32_e32 v4, 40, v24
	v_cndmask_b32_e32 v4, v4, v26, vcc
	v_mul_i32_i24_e32 v8, 6, v4
	v_mov_b32_e32 v9, 0
	v_lshl_add_u64 v[50:51], v[8:9], 3, s[8:9]
	global_load_dwordx4 v[8:11], v[50:51], off offset:752
	global_load_dwordx4 v[12:15], v[50:51], off offset:784
	;; [unrolled: 1-line block ×3, first 2 shown]
	v_mov_b32_e32 v38, v39
	v_mov_b32_e32 v56, v7
	;; [unrolled: 1-line block ×6, first 2 shown]
	s_waitcnt vmcnt(2)
	v_pk_mul_f32 v[60:61], v[42:43], v[8:9] op_sel_hi:[0,1]
	s_waitcnt vmcnt(1)
	v_pk_mul_f32 v[6:7], v[6:7], v[14:15] op_sel_hi:[0,1]
	v_mov_b32_e32 v64, v11
	s_waitcnt vmcnt(0)
	v_mov_b32_e32 v65, v19
	v_mov_b32_e32 v68, v13
	;; [unrolled: 1-line block ×3, first 2 shown]
	v_mul_f32_e32 v39, v44, v11
	v_mov_b32_e32 v62, v10
	v_mov_b32_e32 v63, v18
	;; [unrolled: 1-line block ×4, first 2 shown]
	v_mul_f32_e32 v42, v5, v13
	v_mul_f32_e32 v71, v3, v16
	;; [unrolled: 1-line block ×4, first 2 shown]
	v_pk_mul_f32 v[18:19], v[40:41], v[64:65]
	v_pk_mul_f32 v[44:45], v[48:49], v[68:69]
	v_fma_f32 v70, v40, v10, -v39
	v_pk_fma_f32 v[40:41], v[56:57], v[14:15], v[6:7] op_sel:[0,0,1] op_sel_hi:[0,1,0]
	v_pk_fma_f32 v[6:7], v[56:57], v[14:15], v[6:7] op_sel:[0,0,1] op_sel_hi:[0,1,0] neg_lo:[1,0,0] neg_hi:[1,0,0]
	v_pk_fma_f32 v[14:15], v[38:39], v[8:9], v[60:61] op_sel:[0,0,1] op_sel_hi:[1,1,0]
	v_pk_fma_f32 v[8:9], v[58:59], v[8:9], v[60:61] op_sel:[0,0,1] op_sel_hi:[0,1,0] neg_lo:[1,0,0] neg_hi:[1,0,0]
	v_mul_f32_e32 v17, v0, v17
	v_fma_f32 v16, v2, v12, -v42
	v_pk_fma_f32 v[12:13], v[4:5], v[12:13], v[44:45]
	v_pk_fma_f32 v[44:45], v[50:51], v[66:67], v[44:45] neg_lo:[0,0,1] neg_hi:[0,0,1]
	v_pk_fma_f32 v[10:11], v[46:47], v[10:11], v[18:19]
	v_pk_fma_f32 v[18:19], v[46:47], v[62:63], v[18:19] neg_lo:[0,0,1] neg_hi:[0,0,1]
	v_mov_b32_e32 v4, v9
	v_mov_b32_e32 v2, v7
	v_pk_add_f32 v[38:39], v[70:71], v[16:17]
	v_mov_b32_e32 v41, v7
	v_mov_b32_e32 v15, v9
	;; [unrolled: 1-line block ×4, first 2 shown]
	v_pk_add_f32 v[2:3], v[4:5], v[2:3]
	v_mov_b32_e32 v7, v70
	v_mov_b32_e32 v9, v16
	v_pk_add_f32 v[16:17], v[14:15], v[40:41]
	v_pk_add_f32 v[14:15], v[14:15], v[40:41] neg_lo:[0,1] neg_hi:[0,1]
	v_mov_b32_e32 v8, v39
	v_pk_add_f32 v[40:41], v[10:11], v[12:13]
	v_mov_b32_e32 v6, v3
	v_mov_b32_e32 v4, v45
	;; [unrolled: 1-line block ×4, first 2 shown]
	v_pk_add_f32 v[6:7], v[6:7], v[8:9] neg_lo:[0,1] neg_hi:[0,1]
	v_mov_b32_e32 v5, v40
	v_pk_add_f32 v[10:11], v[10:11], v[12:13] neg_lo:[0,1] neg_hi:[0,1]
	v_mov_b32_e32 v13, v15
	v_pk_add_f32 v[46:47], v[38:39], v[2:3]
	v_mov_b32_e32 v12, v6
	v_pk_add_f32 v[4:5], v[4:5], v[18:19]
	v_mov_b32_e32 v44, v14
	v_mov_b32_e32 v45, v11
	;; [unrolled: 1-line block ×4, first 2 shown]
	v_pk_add_f32 v[12:13], v[12:13], v[10:11] neg_lo:[0,1] neg_hi:[0,1]
	v_pk_add_f32 v[46:47], v[46:47], v[4:5]
	v_mov_b32_e32 v5, v40
	v_pk_add_f32 v[8:9], v[10:11], v[6:7]
	v_pk_add_f32 v[44:45], v[44:45], v[6:7] neg_lo:[0,1] neg_hi:[0,1]
	v_mov_b32_e32 v11, v7
	v_pk_mul_f32 v[6:7], v[12:13], s[12:13]
	v_pk_add_f32 v[12:13], v[36:37], v[46:47]
	v_pk_add_f32 v[36:37], v[2:3], v[4:5] neg_lo:[0,1] neg_hi:[0,1]
	v_mov_b32_e32 v5, v16
	v_pk_add_f32 v[4:5], v[4:5], v[38:39] neg_lo:[0,1] neg_hi:[0,1]
	v_pk_add_f32 v[8:9], v[8:9], v[14:15]
	v_pk_mul_f32 v[4:5], v[4:5], s[18:19]
	v_pk_mul_f32 v[18:19], v[44:45], s[10:11]
	v_pk_add_f32 v[10:11], v[10:11], v[14:15] neg_lo:[0,1] neg_hi:[0,1]
	v_pk_mul_f32 v[14:15], v[36:37], s[20:21]
	v_pk_fma_f32 v[46:47], v[46:47], s[22:23], v[12:13] op_sel_hi:[1,0,1]
	v_pk_fma_f32 v[44:45], v[44:45], s[10:11], v[6:7]
	v_pk_fma_f32 v[36:37], v[36:37], s[20:21], v[4:5]
	v_mov_b32_e32 v39, v40
	v_pk_fma_f32 v[40:41], v[8:9], s[2:3], v[44:45] op_sel_hi:[1,0,1]
	v_pk_add_f32 v[36:37], v[36:37], v[46:47]
	v_mov_b32_e32 v3, v16
	v_pk_add_f32 v[48:49], v[36:37], v[40:41]
	v_pk_add_f32 v[36:37], v[36:37], v[40:41] neg_lo:[0,1] neg_hi:[0,1]
	v_mov_b32_e32 v44, v14
	v_mov_b32_e32 v45, v5
	;; [unrolled: 1-line block ×4, first 2 shown]
	v_pk_add_f32 v[2:3], v[38:39], v[2:3] neg_lo:[0,1] neg_hi:[0,1]
	v_mov_b32_e32 v16, v18
	v_mov_b32_e32 v17, v7
	;; [unrolled: 1-line block ×4, first 2 shown]
	ds_write2_b64 v29, v[12:13], v[40:41] offset0:56 offset1:152
	v_pk_fma_f32 v[12:13], v[2:3], s[16:17], v[44:45] op_sel_hi:[1,0,1] neg_lo:[1,0,1] neg_hi:[1,0,1]
	v_pk_fma_f32 v[16:17], v[10:11], s[14:15], v[16:17] op_sel_hi:[1,0,1] neg_lo:[1,0,1] neg_hi:[1,0,1]
	;; [unrolled: 1-line block ×4, first 2 shown]
	v_pk_add_f32 v[12:13], v[12:13], v[46:47]
	v_pk_fma_f32 v[16:17], v[8:9], s[2:3], v[16:17] op_sel_hi:[1,0,1]
	v_pk_fma_f32 v[6:7], v[8:9], s[2:3], v[6:7] op_sel_hi:[1,0,1]
	v_pk_add_f32 v[2:3], v[2:3], v[46:47]
	v_pk_add_f32 v[38:39], v[12:13], v[16:17]
	v_pk_add_f32 v[12:13], v[12:13], v[16:17] neg_lo:[0,1] neg_hi:[0,1]
	v_pk_add_f32 v[4:5], v[2:3], v[6:7] neg_lo:[0,1] neg_hi:[0,1]
	v_pk_add_f32 v[2:3], v[2:3], v[6:7]
	v_mov_b32_e32 v16, v38
	v_mov_b32_e32 v17, v13
	v_mov_b32_e32 v6, v4
	v_mov_b32_e32 v7, v3
	v_mov_b32_e32 v3, v5
	v_mov_b32_e32 v13, v39
	v_add_u32_e32 v0, 0xc00, v29
	v_mov_b32_e32 v37, v49
	ds_write2_b64 v1, v[16:17], v[6:7] offset0:120 offset1:216
	ds_write2_b64 v0, v[2:3], v[12:13] offset0:56 offset1:152
	ds_write_b64 v29, v[36:37] offset:5056
.LBB0_19:
	s_or_b64 exec, exec, s[24:25]
	s_waitcnt lgkmcnt(0)
	; wave barrier
	s_waitcnt lgkmcnt(0)
	ds_read_b64 v[4:5], v29
	s_add_u32 s2, s8, 0x14f0
	s_addc_u32 s3, s9, 0
	v_sub_u32_e32 v6, 0, v25
	v_cmp_ne_u32_e32 vcc, 0, v24
                                        ; implicit-def: $vgpr3
                                        ; implicit-def: $vgpr0_vgpr1
	s_and_saveexec_b64 s[8:9], vcc
	s_xor_b64 s[8:9], exec, s[8:9]
	s_cbranch_execz .LBB0_21
; %bb.20:
	v_mov_b32_e32 v25, 0
	v_lshl_add_u64 v[0:1], v[24:25], 3, s[2:3]
	global_load_dwordx2 v[0:1], v[0:1], off
	ds_read_b64 v[2:3], v6 offset:5376
	v_mov_b32_e32 v9, 0.5
	v_mov_b32_e32 v10, v9
	s_waitcnt lgkmcnt(0)
	v_pk_add_f32 v[12:13], v[2:3], v[4:5]
	v_pk_add_f32 v[2:3], v[4:5], v[2:3] neg_lo:[0,1] neg_hi:[0,1]
	v_mov_b32_e32 v4, v13
	v_mov_b32_e32 v5, v2
	v_pk_mul_f32 v[4:5], v[4:5], 0.5 op_sel_hi:[1,0]
	s_waitcnt vmcnt(0)
	v_mov_b32_e32 v8, v1
	v_mov_b32_e32 v2, v5
	;; [unrolled: 1-line block ×4, first 2 shown]
	v_pk_mul_f32 v[2:3], v[8:9], v[2:3]
	v_pk_mul_f32 v[14:15], v[0:1], v[4:5] op_sel_hi:[0,1]
	v_pk_fma_f32 v[8:9], v[12:13], v[10:11], v[2:3]
	v_pk_fma_f32 v[10:11], v[12:13], v[10:11], v[2:3] neg_lo:[0,0,1] neg_hi:[0,0,1]
	v_pk_fma_f32 v[2:3], v[0:1], v[4:5], v[8:9] op_sel_hi:[0,1,1] neg_lo:[1,0,0] neg_hi:[1,0,0]
	v_pk_fma_f32 v[0:1], v[0:1], v[4:5], v[10:11] op_sel_hi:[0,1,1] neg_lo:[1,0,0] neg_hi:[1,0,0]
	v_add_f32_e32 v2, v8, v14
                                        ; implicit-def: $vgpr4_vgpr5
.LBB0_21:
	s_or_saveexec_b64 s[8:9], s[8:9]
	v_sub_u32_e32 v10, 0, v31
	v_sub_u32_e32 v9, 0, v33
	;; [unrolled: 1-line block ×4, first 2 shown]
	s_xor_b64 exec, exec, s[8:9]
	s_cbranch_execz .LBB0_23
; %bb.22:
	s_waitcnt lgkmcnt(0)
	v_mov_b32_e32 v0, v5
	v_pk_add_f32 v[0:1], v[4:5], v[0:1] neg_lo:[0,1] neg_hi:[0,1]
	v_add_f32_e32 v2, v5, v4
	v_mov_b32_e32 v1, 0
	ds_read_b32 v3, v1 offset:2692
	s_waitcnt lgkmcnt(0)
	v_xor_b32_e32 v3, 0x80000000, v3
	ds_write_b32 v1, v3 offset:2692
	v_mov_b32_e32 v3, v1
.LBB0_23:
	s_or_b64 exec, exec, s[8:9]
	v_mov_b32_e32 v27, 0
	s_waitcnt lgkmcnt(0)
	v_lshl_add_u64 v[4:5], v[26:27], 3, s[2:3]
	global_load_dwordx2 v[4:5], v[4:5], off
	v_mov_b32_e32 v35, v27
	v_lshl_add_u64 v[12:13], v[34:35], 3, s[2:3]
	global_load_dwordx2 v[12:13], v[12:13], off
	v_mov_b32_e32 v33, v27
	;; [unrolled: 3-line block ×3, first 2 shown]
	v_lshl_add_u64 v[16:17], v[30:31], 3, s[2:3]
	global_load_dwordx2 v[16:17], v[16:17], off
	ds_write_b64 v29, v[2:3]
	ds_write_b64 v6, v[0:1] offset:5376
	v_mov_b32_e32 v29, v27
	v_lshl_add_u64 v[28:29], v[28:29], 3, s[2:3]
	v_add_u32_e32 v25, v55, v10
	ds_read_b64 v[2:3], v43
	ds_read_b64 v[10:11], v6 offset:4928
	global_load_dwordx2 v[28:29], v[28:29], off
	v_mov_b32_e32 v1, 0.5
	v_mov_b32_e32 v18, v1
	v_add_u32_e32 v26, v54, v9
	s_waitcnt lgkmcnt(0)
	v_pk_add_f32 v[30:31], v[2:3], v[10:11]
	v_pk_add_f32 v[2:3], v[2:3], v[10:11] neg_lo:[0,1] neg_hi:[0,1]
	v_mov_b32_e32 v10, v31
	v_mov_b32_e32 v11, v2
	v_pk_mul_f32 v[10:11], v[10:11], 0.5 op_sel_hi:[1,0]
	v_add_u32_e32 v7, v52, v7
	v_mov_b32_e32 v31, v10
	v_mov_b32_e32 v2, v11
	s_waitcnt vmcnt(4)
	v_mov_b32_e32 v19, v5
	v_mov_b32_e32 v0, v5
	v_pk_mul_f32 v[18:19], v[30:31], v[18:19]
	s_waitcnt vmcnt(2)
	v_mov_b32_e32 v9, v15
	v_pk_fma_f32 v[30:31], v[0:1], v[2:3], v[18:19] neg_lo:[1,0,0] neg_hi:[1,0,0]
	v_pk_fma_f32 v[2:3], v[0:1], v[2:3], v[18:19]
	v_pk_fma_f32 v[18:19], v[4:5], v[10:11], v[30:31] op_sel_hi:[0,1,1] neg_lo:[1,0,0] neg_hi:[1,0,0]
	v_pk_fma_f32 v[30:31], v[4:5], v[10:11], v[2:3] op_sel_hi:[0,1,1]
	v_pk_fma_f32 v[2:3], v[4:5], v[10:11], v[2:3] op_sel_hi:[0,1,1] neg_lo:[1,0,0] neg_hi:[1,0,0]
	v_mov_b32_e32 v31, v3
	ds_write_b64 v43, v[30:31]
	ds_write_b64 v6, v[18:19] offset:4928
	ds_read_b64 v[2:3], v25
	ds_read_b64 v[4:5], v6 offset:4480
	v_mov_b32_e32 v10, v1
	v_mov_b32_e32 v11, v13
	;; [unrolled: 1-line block ×3, first 2 shown]
	s_waitcnt lgkmcnt(0)
	v_pk_add_f32 v[18:19], v[2:3], v[4:5]
	v_pk_add_f32 v[2:3], v[2:3], v[4:5] neg_lo:[0,1] neg_hi:[0,1]
	v_mov_b32_e32 v4, v19
	v_mov_b32_e32 v5, v2
	v_pk_mul_f32 v[4:5], v[4:5], 0.5 op_sel_hi:[1,0]
	s_nop 0
	v_mov_b32_e32 v19, v4
	v_mov_b32_e32 v2, v5
	v_pk_mul_f32 v[10:11], v[18:19], v[10:11]
	s_nop 0
	v_pk_fma_f32 v[18:19], v[0:1], v[2:3], v[10:11] neg_lo:[1,0,0] neg_hi:[1,0,0]
	v_pk_fma_f32 v[2:3], v[0:1], v[2:3], v[10:11]
	v_pk_fma_f32 v[10:11], v[12:13], v[4:5], v[18:19] op_sel_hi:[0,1,1] neg_lo:[1,0,0] neg_hi:[1,0,0]
	v_pk_fma_f32 v[18:19], v[12:13], v[4:5], v[2:3] op_sel_hi:[0,1,1]
	v_pk_fma_f32 v[2:3], v[12:13], v[4:5], v[2:3] op_sel_hi:[0,1,1] neg_lo:[1,0,0] neg_hi:[1,0,0]
	v_mov_b32_e32 v19, v3
	ds_write_b64 v25, v[18:19]
	ds_write_b64 v6, v[10:11] offset:4480
	ds_read_b64 v[2:3], v26
	ds_read_b64 v[4:5], v6 offset:4032
	v_add_u32_e32 v12, v53, v8
	v_mov_b32_e32 v8, v1
	v_mov_b32_e32 v0, v15
	s_waitcnt lgkmcnt(0)
	v_pk_add_f32 v[10:11], v[2:3], v[4:5]
	v_pk_add_f32 v[2:3], v[2:3], v[4:5] neg_lo:[0,1] neg_hi:[0,1]
	v_mov_b32_e32 v4, v11
	v_mov_b32_e32 v5, v2
	v_pk_mul_f32 v[4:5], v[4:5], 0.5 op_sel_hi:[1,0]
	s_nop 0
	v_mov_b32_e32 v11, v4
	v_mov_b32_e32 v2, v5
	v_pk_mul_f32 v[8:9], v[10:11], v[8:9]
	s_nop 0
	v_pk_fma_f32 v[10:11], v[0:1], v[2:3], v[8:9] neg_lo:[1,0,0] neg_hi:[1,0,0]
	v_pk_fma_f32 v[2:3], v[0:1], v[2:3], v[8:9]
	v_pk_fma_f32 v[8:9], v[14:15], v[4:5], v[10:11] op_sel_hi:[0,1,1] neg_lo:[1,0,0] neg_hi:[1,0,0]
	v_pk_fma_f32 v[10:11], v[14:15], v[4:5], v[2:3] op_sel_hi:[0,1,1]
	v_pk_fma_f32 v[2:3], v[14:15], v[4:5], v[2:3] op_sel_hi:[0,1,1] neg_lo:[1,0,0] neg_hi:[1,0,0]
	v_mov_b32_e32 v11, v3
	ds_write_b64 v26, v[10:11]
	ds_write_b64 v6, v[8:9] offset:4032
	ds_read_b64 v[2:3], v12
	ds_read_b64 v[4:5], v6 offset:3584
	v_mov_b32_e32 v8, v1
	s_waitcnt vmcnt(1)
	v_mov_b32_e32 v9, v17
	v_mov_b32_e32 v0, v17
	s_waitcnt lgkmcnt(0)
	v_pk_add_f32 v[10:11], v[2:3], v[4:5]
	v_pk_add_f32 v[2:3], v[2:3], v[4:5] neg_lo:[0,1] neg_hi:[0,1]
	v_mov_b32_e32 v4, v11
	v_mov_b32_e32 v5, v2
	v_pk_mul_f32 v[4:5], v[4:5], 0.5 op_sel_hi:[1,0]
	s_nop 0
	v_mov_b32_e32 v11, v4
	v_mov_b32_e32 v2, v5
	v_pk_mul_f32 v[8:9], v[10:11], v[8:9]
	s_nop 0
	v_pk_fma_f32 v[10:11], v[0:1], v[2:3], v[8:9] neg_lo:[1,0,0] neg_hi:[1,0,0]
	v_pk_fma_f32 v[2:3], v[0:1], v[2:3], v[8:9]
	v_pk_fma_f32 v[8:9], v[16:17], v[4:5], v[10:11] op_sel_hi:[0,1,1] neg_lo:[1,0,0] neg_hi:[1,0,0]
	v_pk_fma_f32 v[10:11], v[16:17], v[4:5], v[2:3] op_sel_hi:[0,1,1]
	v_pk_fma_f32 v[2:3], v[16:17], v[4:5], v[2:3] op_sel_hi:[0,1,1] neg_lo:[1,0,0] neg_hi:[1,0,0]
	v_mov_b32_e32 v11, v3
	ds_write_b64 v12, v[10:11]
	ds_write_b64 v6, v[8:9] offset:3584
	ds_read_b64 v[2:3], v7
	ds_read_b64 v[4:5], v6 offset:3136
	v_mov_b32_e32 v8, v1
	s_waitcnt vmcnt(0)
	v_mov_b32_e32 v9, v29
	v_mov_b32_e32 v0, v29
	s_waitcnt lgkmcnt(0)
	v_pk_add_f32 v[10:11], v[2:3], v[4:5]
	v_pk_add_f32 v[2:3], v[2:3], v[4:5] neg_lo:[0,1] neg_hi:[0,1]
	v_mov_b32_e32 v4, v11
	v_mov_b32_e32 v5, v2
	v_pk_mul_f32 v[4:5], v[4:5], 0.5 op_sel_hi:[1,0]
	s_nop 0
	v_mov_b32_e32 v11, v4
	v_mov_b32_e32 v2, v5
	v_pk_mul_f32 v[8:9], v[10:11], v[8:9]
	s_nop 0
	v_pk_fma_f32 v[10:11], v[0:1], v[2:3], v[8:9] neg_lo:[1,0,0] neg_hi:[1,0,0]
	v_pk_fma_f32 v[0:1], v[0:1], v[2:3], v[8:9]
	v_pk_fma_f32 v[2:3], v[28:29], v[4:5], v[10:11] op_sel_hi:[0,1,1] neg_lo:[1,0,0] neg_hi:[1,0,0]
	v_pk_fma_f32 v[8:9], v[28:29], v[4:5], v[0:1] op_sel_hi:[0,1,1]
	v_pk_fma_f32 v[0:1], v[28:29], v[4:5], v[0:1] op_sel_hi:[0,1,1] neg_lo:[1,0,0] neg_hi:[1,0,0]
	v_mov_b32_e32 v9, v1
	ds_write_b64 v7, v[8:9]
	ds_write_b64 v6, v[2:3] offset:3136
	s_waitcnt lgkmcnt(0)
	; wave barrier
	s_waitcnt lgkmcnt(0)
	s_and_saveexec_b64 s[2:3], s[0:1]
	s_cbranch_execz .LBB0_26
; %bb.24:
	v_mul_lo_u32 v2, s5, v22
	v_mul_lo_u32 v3, s4, v23
	v_mad_u64_u32 v[0:1], s[0:1], s4, v22, 0
	v_lshl_add_u32 v10, v24, 3, 0
	v_add3_u32 v1, v1, v3, v2
	ds_read2_b64 v[2:5], v10 offset1:56
	v_lshl_add_u64 v[0:1], v[0:1], 3, s[6:7]
	v_mov_b32_e32 v25, v27
	v_lshl_add_u64 v[0:1], v[20:21], 3, v[0:1]
	v_lshl_add_u64 v[6:7], v[24:25], 3, v[0:1]
	s_waitcnt lgkmcnt(0)
	global_store_dwordx2 v[6:7], v[2:3], off
	ds_read2_b64 v[6:9], v10 offset0:112 offset1:168
	v_add_u32_e32 v26, 56, v24
	v_lshl_add_u64 v[2:3], v[26:27], 3, v[0:1]
	v_add_u32_e32 v26, 0x70, v24
	global_store_dwordx2 v[2:3], v[4:5], off
	v_lshl_add_u64 v[2:3], v[26:27], 3, v[0:1]
	s_waitcnt lgkmcnt(0)
	global_store_dwordx2 v[2:3], v[6:7], off
	v_add_u32_e32 v2, 0x400, v10
	ds_read2_b64 v[2:5], v2 offset0:96 offset1:152
	v_add_u32_e32 v26, 0xa8, v24
	v_lshl_add_u64 v[6:7], v[26:27], 3, v[0:1]
	v_add_u32_e32 v26, 0xe0, v24
	global_store_dwordx2 v[6:7], v[8:9], off
	v_lshl_add_u64 v[6:7], v[26:27], 3, v[0:1]
	v_add_u32_e32 v11, 0x800, v10
	s_waitcnt lgkmcnt(0)
	global_store_dwordx2 v[6:7], v[2:3], off
	ds_read2_b64 v[6:9], v11 offset0:80 offset1:136
	v_add_u32_e32 v26, 0x118, v24
	v_lshl_add_u64 v[2:3], v[26:27], 3, v[0:1]
	v_add_u32_e32 v26, 0x150, v24
	global_store_dwordx2 v[2:3], v[4:5], off
	v_lshl_add_u64 v[2:3], v[26:27], 3, v[0:1]
	s_waitcnt lgkmcnt(0)
	global_store_dwordx2 v[2:3], v[6:7], off
	ds_read2_b64 v[2:5], v11 offset0:192 offset1:248
	v_add_u32_e32 v26, 0x188, v24
	v_lshl_add_u64 v[6:7], v[26:27], 3, v[0:1]
	v_add_u32_e32 v26, 0x1c0, v24
	global_store_dwordx2 v[6:7], v[8:9], off
	v_lshl_add_u64 v[6:7], v[26:27], 3, v[0:1]
	s_waitcnt lgkmcnt(0)
	global_store_dwordx2 v[6:7], v[2:3], off
	v_add_u32_e32 v2, 0x1000, v10
	ds_read2_b64 v[6:9], v2 offset0:48 offset1:104
	v_add_u32_e32 v26, 0x1f8, v24
	v_lshl_add_u64 v[2:3], v[26:27], 3, v[0:1]
	v_add_u32_e32 v26, 0x230, v24
	global_store_dwordx2 v[2:3], v[4:5], off
	v_lshl_add_u64 v[2:3], v[26:27], 3, v[0:1]
	v_add_u32_e32 v26, 0x268, v24
	s_waitcnt lgkmcnt(0)
	global_store_dwordx2 v[2:3], v[6:7], off
	v_lshl_add_u64 v[2:3], v[26:27], 3, v[0:1]
	v_cmp_eq_u32_e32 vcc, 55, v24
	global_store_dwordx2 v[2:3], v[8:9], off
	s_and_b64 exec, exec, vcc
	s_cbranch_execz .LBB0_26
; %bb.25:
	v_mov_b32_e32 v2, 0
	ds_read_b64 v[2:3], v2 offset:5376
	v_add_co_u32_e32 v0, vcc, 0x1000, v0
	s_nop 1
	v_addc_co_u32_e32 v1, vcc, 0, v1, vcc
	s_waitcnt lgkmcnt(0)
	global_store_dwordx2 v[0:1], v[2:3], off offset:1280
.LBB0_26:
	s_endpgm
	.section	.rodata,"a",@progbits
	.p2align	6, 0x0
	.amdhsa_kernel fft_rtc_fwd_len672_factors_2_2_2_2_2_3_7_wgs_56_tpt_56_halfLds_sp_op_CI_CI_unitstride_sbrr_R2C_dirReg
		.amdhsa_group_segment_fixed_size 0
		.amdhsa_private_segment_fixed_size 0
		.amdhsa_kernarg_size 104
		.amdhsa_user_sgpr_count 2
		.amdhsa_user_sgpr_dispatch_ptr 0
		.amdhsa_user_sgpr_queue_ptr 0
		.amdhsa_user_sgpr_kernarg_segment_ptr 1
		.amdhsa_user_sgpr_dispatch_id 0
		.amdhsa_user_sgpr_kernarg_preload_length 0
		.amdhsa_user_sgpr_kernarg_preload_offset 0
		.amdhsa_user_sgpr_private_segment_size 0
		.amdhsa_uses_dynamic_stack 0
		.amdhsa_enable_private_segment 0
		.amdhsa_system_sgpr_workgroup_id_x 1
		.amdhsa_system_sgpr_workgroup_id_y 0
		.amdhsa_system_sgpr_workgroup_id_z 0
		.amdhsa_system_sgpr_workgroup_info 0
		.amdhsa_system_vgpr_workitem_id 0
		.amdhsa_next_free_vgpr 88
		.amdhsa_next_free_sgpr 28
		.amdhsa_accum_offset 88
		.amdhsa_reserve_vcc 1
		.amdhsa_float_round_mode_32 0
		.amdhsa_float_round_mode_16_64 0
		.amdhsa_float_denorm_mode_32 3
		.amdhsa_float_denorm_mode_16_64 3
		.amdhsa_dx10_clamp 1
		.amdhsa_ieee_mode 1
		.amdhsa_fp16_overflow 0
		.amdhsa_tg_split 0
		.amdhsa_exception_fp_ieee_invalid_op 0
		.amdhsa_exception_fp_denorm_src 0
		.amdhsa_exception_fp_ieee_div_zero 0
		.amdhsa_exception_fp_ieee_overflow 0
		.amdhsa_exception_fp_ieee_underflow 0
		.amdhsa_exception_fp_ieee_inexact 0
		.amdhsa_exception_int_div_zero 0
	.end_amdhsa_kernel
	.text
.Lfunc_end0:
	.size	fft_rtc_fwd_len672_factors_2_2_2_2_2_3_7_wgs_56_tpt_56_halfLds_sp_op_CI_CI_unitstride_sbrr_R2C_dirReg, .Lfunc_end0-fft_rtc_fwd_len672_factors_2_2_2_2_2_3_7_wgs_56_tpt_56_halfLds_sp_op_CI_CI_unitstride_sbrr_R2C_dirReg
                                        ; -- End function
	.section	.AMDGPU.csdata,"",@progbits
; Kernel info:
; codeLenInByte = 8752
; NumSgprs: 34
; NumVgprs: 88
; NumAgprs: 0
; TotalNumVgprs: 88
; ScratchSize: 0
; MemoryBound: 0
; FloatMode: 240
; IeeeMode: 1
; LDSByteSize: 0 bytes/workgroup (compile time only)
; SGPRBlocks: 4
; VGPRBlocks: 10
; NumSGPRsForWavesPerEU: 34
; NumVGPRsForWavesPerEU: 88
; AccumOffset: 88
; Occupancy: 5
; WaveLimiterHint : 1
; COMPUTE_PGM_RSRC2:SCRATCH_EN: 0
; COMPUTE_PGM_RSRC2:USER_SGPR: 2
; COMPUTE_PGM_RSRC2:TRAP_HANDLER: 0
; COMPUTE_PGM_RSRC2:TGID_X_EN: 1
; COMPUTE_PGM_RSRC2:TGID_Y_EN: 0
; COMPUTE_PGM_RSRC2:TGID_Z_EN: 0
; COMPUTE_PGM_RSRC2:TIDIG_COMP_CNT: 0
; COMPUTE_PGM_RSRC3_GFX90A:ACCUM_OFFSET: 21
; COMPUTE_PGM_RSRC3_GFX90A:TG_SPLIT: 0
	.text
	.p2alignl 6, 3212836864
	.fill 256, 4, 3212836864
	.type	__hip_cuid_3534ac23baaea6cf,@object ; @__hip_cuid_3534ac23baaea6cf
	.section	.bss,"aw",@nobits
	.globl	__hip_cuid_3534ac23baaea6cf
__hip_cuid_3534ac23baaea6cf:
	.byte	0                               ; 0x0
	.size	__hip_cuid_3534ac23baaea6cf, 1

	.ident	"AMD clang version 19.0.0git (https://github.com/RadeonOpenCompute/llvm-project roc-6.4.0 25133 c7fe45cf4b819c5991fe208aaa96edf142730f1d)"
	.section	".note.GNU-stack","",@progbits
	.addrsig
	.addrsig_sym __hip_cuid_3534ac23baaea6cf
	.amdgpu_metadata
---
amdhsa.kernels:
  - .agpr_count:     0
    .args:
      - .actual_access:  read_only
        .address_space:  global
        .offset:         0
        .size:           8
        .value_kind:     global_buffer
      - .offset:         8
        .size:           8
        .value_kind:     by_value
      - .actual_access:  read_only
        .address_space:  global
        .offset:         16
        .size:           8
        .value_kind:     global_buffer
      - .actual_access:  read_only
        .address_space:  global
        .offset:         24
        .size:           8
        .value_kind:     global_buffer
      - .actual_access:  read_only
        .address_space:  global
        .offset:         32
        .size:           8
        .value_kind:     global_buffer
      - .offset:         40
        .size:           8
        .value_kind:     by_value
      - .actual_access:  read_only
        .address_space:  global
        .offset:         48
        .size:           8
        .value_kind:     global_buffer
      - .actual_access:  read_only
        .address_space:  global
        .offset:         56
        .size:           8
        .value_kind:     global_buffer
      - .offset:         64
        .size:           4
        .value_kind:     by_value
      - .actual_access:  read_only
        .address_space:  global
        .offset:         72
        .size:           8
        .value_kind:     global_buffer
      - .actual_access:  read_only
        .address_space:  global
        .offset:         80
        .size:           8
        .value_kind:     global_buffer
      - .actual_access:  read_only
        .address_space:  global
        .offset:         88
        .size:           8
        .value_kind:     global_buffer
      - .actual_access:  write_only
        .address_space:  global
        .offset:         96
        .size:           8
        .value_kind:     global_buffer
    .group_segment_fixed_size: 0
    .kernarg_segment_align: 8
    .kernarg_segment_size: 104
    .language:       OpenCL C
    .language_version:
      - 2
      - 0
    .max_flat_workgroup_size: 56
    .name:           fft_rtc_fwd_len672_factors_2_2_2_2_2_3_7_wgs_56_tpt_56_halfLds_sp_op_CI_CI_unitstride_sbrr_R2C_dirReg
    .private_segment_fixed_size: 0
    .sgpr_count:     34
    .sgpr_spill_count: 0
    .symbol:         fft_rtc_fwd_len672_factors_2_2_2_2_2_3_7_wgs_56_tpt_56_halfLds_sp_op_CI_CI_unitstride_sbrr_R2C_dirReg.kd
    .uniform_work_group_size: 1
    .uses_dynamic_stack: false
    .vgpr_count:     88
    .vgpr_spill_count: 0
    .wavefront_size: 64
amdhsa.target:   amdgcn-amd-amdhsa--gfx950
amdhsa.version:
  - 1
  - 2
...

	.end_amdgpu_metadata
